;; amdgpu-corpus repo=ROCm/rocFFT kind=compiled arch=gfx906 opt=O3
	.text
	.amdgcn_target "amdgcn-amd-amdhsa--gfx906"
	.amdhsa_code_object_version 6
	.protected	fft_rtc_fwd_len200_factors_8_5_5_wgs_400_tpt_40_sp_op_CI_CI_sbrc_erc_z_xy_unaligned ; -- Begin function fft_rtc_fwd_len200_factors_8_5_5_wgs_400_tpt_40_sp_op_CI_CI_sbrc_erc_z_xy_unaligned
	.globl	fft_rtc_fwd_len200_factors_8_5_5_wgs_400_tpt_40_sp_op_CI_CI_sbrc_erc_z_xy_unaligned
	.p2align	8
	.type	fft_rtc_fwd_len200_factors_8_5_5_wgs_400_tpt_40_sp_op_CI_CI_sbrc_erc_z_xy_unaligned,@function
fft_rtc_fwd_len200_factors_8_5_5_wgs_400_tpt_40_sp_op_CI_CI_sbrc_erc_z_xy_unaligned: ; @fft_rtc_fwd_len200_factors_8_5_5_wgs_400_tpt_40_sp_op_CI_CI_sbrc_erc_z_xy_unaligned
; %bb.0:
	s_load_dwordx8 s[8:15], s[4:5], 0x8
	s_mov_b64 s[26:27], -1
	s_waitcnt lgkmcnt(0)
	s_load_dwordx4 s[0:3], s[10:11], 0x8
	s_load_dwordx4 s[16:19], s[12:13], 0x0
	s_load_dword s7, s[12:13], 0x10
	s_waitcnt lgkmcnt(0)
	s_add_i32 s1, s0, -1
	s_mul_hi_u32 s1, s1, 0xcccccccd
	s_lshr_b32 s1, s1, 3
	s_add_i32 s3, s1, 1
	s_mul_i32 s2, s3, s2
	v_cvt_f32_u32_e32 v2, s2
	v_cvt_f32_u32_e32 v1, s3
	s_sub_i32 s10, 0, s2
	v_rcp_iflag_f32_e32 v2, v2
	v_rcp_iflag_f32_e32 v1, v1
	v_mul_f32_e32 v2, 0x4f7ffffe, v2
	v_cvt_u32_f32_e32 v2, v2
	v_mul_f32_e32 v1, 0x4f7ffffe, v1
	v_cvt_u32_f32_e32 v1, v1
	v_readfirstlane_b32 s19, v2
	s_mul_i32 s10, s10, s19
	s_mul_hi_u32 s10, s19, s10
	s_add_i32 s19, s19, s10
	s_mul_hi_u32 s10, s6, s19
	s_mul_i32 s19, s10, s2
	s_sub_i32 s19, s6, s19
	s_add_i32 s20, s10, 1
	s_sub_i32 s21, s19, s2
	s_cmp_ge_u32 s19, s2
	s_cselect_b32 s10, s20, s10
	s_cselect_b32 s19, s21, s19
	s_add_i32 s20, s10, 1
	s_cmp_ge_u32 s19, s2
	v_readfirstlane_b32 s11, v1
	s_cselect_b32 s19, s20, s10
	s_not_b32 s1, s1
	s_mul_i32 s1, s1, s11
	s_mul_i32 s2, s19, s2
	s_mul_hi_u32 s1, s11, s1
	s_sub_i32 s2, s6, s2
	s_add_i32 s11, s11, s1
	s_mul_hi_u32 s1, s2, s11
	s_mul_i32 s10, s1, s3
	s_sub_i32 s2, s2, s10
	s_add_i32 s20, s1, 1
	s_sub_i32 s10, s2, s3
	s_cmp_ge_u32 s2, s3
	s_cselect_b32 s1, s20, s1
	s_cselect_b32 s2, s10, s2
	s_add_i32 s10, s1, 1
	s_cmp_ge_u32 s2, s3
	s_cselect_b32 s28, s10, s1
	s_mul_hi_u32 s1, s6, s11
	s_mul_i32 s1, s1, s3
	s_sub_i32 s1, s6, s1
	s_sub_i32 s2, s1, s3
	s_cmp_ge_u32 s1, s3
	s_cselect_b32 s1, s2, s1
	s_sub_i32 s2, s1, s3
	s_cmp_ge_u32 s1, s3
	s_cselect_b32 s1, s2, s1
	s_mul_i32 s1, s1, 10
	s_mul_i32 s2, s28, s7
	;; [unrolled: 1-line block ×3, first 2 shown]
	s_add_i32 s24, s3, s2
	s_lshl_b64 s[6:7], s[8:9], 3
	s_add_u32 s12, s12, s6
	s_addc_u32 s13, s13, s7
	s_load_dwordx2 s[22:23], s[12:13], 0x0
	s_load_dwordx2 s[20:21], s[4:5], 0x58
	s_load_dwordx4 s[8:11], s[14:15], 0x0
	s_load_dwordx2 s[2:3], s[14:15], 0x10
	v_mul_u32_u24_e32 v1, 0x148, v0
	s_waitcnt lgkmcnt(0)
	s_mul_i32 s3, s23, s19
	s_mul_hi_u32 s11, s22, s19
	s_add_i32 s11, s11, s3
	s_mul_i32 s3, s22, s19
	s_add_u32 s22, s3, s24
	s_addc_u32 s23, s11, 0
	s_add_u32 s24, s14, s6
	s_addc_u32 s25, s15, s7
	s_add_i32 s3, s1, 10
	s_cmp_le_u32 s3, s0
	v_lshrrev_b32_e32 v1, 16, v1
	s_cselect_b64 s[6:7], -1, 0
	v_mul_lo_u16_e32 v2, 0xc8, v1
	v_sub_u16_e32 v2, v0, v2
	s_and_b64 vcc, exec, s[6:7]
	s_cbranch_vccz .LBB0_2
; %bb.1:
	v_mad_u64_u32 v[3:4], s[12:13], s16, v2, 0
	v_mul_lo_u32 v5, s18, v1
	v_mov_b32_e32 v6, 0
	s_mov_b64 s[26:27], 0
	v_mad_u64_u32 v[7:8], s[12:13], s17, v2, v[4:5]
	s_lshl_b64 s[12:13], s[22:23], 3
	s_add_u32 s3, s20, s12
	v_mov_b32_e32 v4, v7
	v_lshlrev_b64 v[3:4], 3, v[3:4]
	s_addc_u32 s11, s21, s13
	v_mov_b32_e32 v7, s11
	v_add_co_u32_e32 v21, vcc, s3, v3
	v_addc_co_u32_e32 v22, vcc, v7, v4, vcc
	v_lshlrev_b64 v[3:4], 3, v[5:6]
	s_lshl_b32 s3, s18, 1
	v_add_u32_e32 v5, s3, v5
	v_add_co_u32_e32 v3, vcc, v21, v3
	v_lshlrev_b64 v[7:8], 3, v[5:6]
	v_addc_co_u32_e32 v4, vcc, v22, v4, vcc
	v_add_u32_e32 v5, s3, v5
	v_add_co_u32_e32 v7, vcc, v21, v7
	v_lshlrev_b64 v[9:10], 3, v[5:6]
	v_addc_co_u32_e32 v8, vcc, v22, v8, vcc
	v_add_u32_e32 v5, s3, v5
	v_add_co_u32_e32 v9, vcc, v21, v9
	v_lshlrev_b64 v[11:12], 3, v[5:6]
	v_addc_co_u32_e32 v10, vcc, v22, v10, vcc
	v_add_co_u32_e32 v11, vcc, v21, v11
	v_add_u32_e32 v5, s3, v5
	v_addc_co_u32_e32 v12, vcc, v22, v12, vcc
	global_load_dwordx2 v[13:14], v[3:4], off
	global_load_dwordx2 v[15:16], v[7:8], off
	;; [unrolled: 1-line block ×4, first 2 shown]
	v_lshlrev_b64 v[3:4], 3, v[5:6]
	v_mul_u32_u24_e32 v5, 0x648, v1
	v_add_co_u32_e32 v3, vcc, v21, v3
	v_addc_co_u32_e32 v4, vcc, v22, v4, vcc
	global_load_dwordx2 v[3:4], v[3:4], off
	v_lshlrev_b32_e32 v6, 3, v2
	v_add3_u32 v5, 0, v5, v6
	s_waitcnt vmcnt(4)
	ds_write_b64 v5, v[13:14]
	s_waitcnt vmcnt(3)
	ds_write_b64 v5, v[15:16] offset:3216
	s_waitcnt vmcnt(2)
	ds_write_b64 v5, v[17:18] offset:6432
	;; [unrolled: 2-line block ×4, first 2 shown]
.LBB0_2:
	s_load_dwordx2 s[14:15], s[4:5], 0x0
	s_load_dwordx2 s[12:13], s[24:25], 0x0
	s_andn2_b64 vcc, exec, s[26:27]
	s_cbranch_vccnz .LBB0_7
; %bb.3:
	v_add_u32_e32 v3, s1, v1
	v_cmp_gt_u32_e32 vcc, s0, v3
	s_and_saveexec_b64 s[24:25], vcc
	s_cbranch_execz .LBB0_6
; %bb.4:
	v_mad_u64_u32 v[4:5], s[26:27], s16, v2, 0
	s_lshl_b64 s[22:23], s[22:23], 3
	s_add_u32 s3, s20, s22
	v_mad_u64_u32 v[5:6], s[16:17], s17, v2, v[5:6]
	s_addc_u32 s11, s21, s23
	v_mov_b32_e32 v6, s11
	v_lshlrev_b64 v[4:5], 3, v[4:5]
	v_lshlrev_b32_e32 v2, 3, v2
	v_add_co_u32_e32 v4, vcc, s3, v4
	v_addc_co_u32_e32 v5, vcc, v6, v5, vcc
	v_mul_u32_u24_e32 v6, 0x648, v1
	v_mul_lo_u32 v1, v1, s18
	v_add3_u32 v6, v6, v2, 0
	s_lshl_b32 s3, s18, 1
	s_mov_b64 s[16:17], 0
	v_mov_b32_e32 v2, 0
.LBB0_5:                                ; =>This Inner Loop Header: Depth=1
	v_lshlrev_b64 v[7:8], 3, v[1:2]
	v_add_u32_e32 v3, 2, v3
	v_add_co_u32_e32 v7, vcc, v4, v7
	v_addc_co_u32_e32 v8, vcc, v5, v8, vcc
	global_load_dwordx2 v[7:8], v[7:8], off
	v_cmp_le_u32_e32 vcc, s0, v3
	v_add_u32_e32 v1, s3, v1
	s_or_b64 s[16:17], vcc, s[16:17]
	s_waitcnt vmcnt(0)
	ds_write_b64 v6, v[7:8]
	v_add_u32_e32 v6, 0xc90, v6
	s_andn2_b64 exec, exec, s[16:17]
	s_cbranch_execnz .LBB0_5
.LBB0_6:
	s_or_b64 exec, exec, s[24:25]
.LBB0_7:
	s_movk_i32 s3, 0x667
	v_mul_u32_u24_sdwa v1, v0, s3 dst_sel:DWORD dst_unused:UNUSED_PAD src0_sel:WORD_0 src1_sel:DWORD
	v_add_u32_sdwa v1, s1, v1 dst_sel:DWORD dst_unused:UNUSED_PAD src0_sel:DWORD src1_sel:WORD_1
	s_mov_b32 s3, 0xcccccccd
	v_mul_hi_u32 v2, v1, s3
	s_mov_b32 s3, 0x6666667
	v_mul_hi_u32 v3, v0, s3
	s_waitcnt lgkmcnt(0)
	v_lshrrev_b32_e32 v2, 3, v2
	v_mul_lo_u32 v2, v2, 10
	v_mul_u32_u24_e32 v3, 40, v3
	v_sub_u32_e32 v19, v0, v3
	s_barrier
	v_sub_u32_e32 v1, v1, v2
	v_mul_u32_u24_e32 v1, 0xc9, v1
	v_lshlrev_b32_e32 v20, 3, v1
	v_lshlrev_b32_e32 v1, 3, v19
	v_add_u32_e32 v21, 0, v1
	v_add_u32_e32 v17, v21, v20
	v_add3_u32 v18, 0, v20, v1
	ds_read2_b64 v[1:4], v17 offset0:25 offset1:50
	ds_read2_b64 v[5:8], v17 offset0:75 offset1:100
	;; [unrolled: 1-line block ×3, first 2 shown]
	ds_read_b64 v[13:14], v18
	ds_read_b64 v[15:16], v17 offset:1400
	s_load_dwordx2 s[4:5], s[4:5], 0x60
	v_cmp_gt_u32_e32 vcc, 25, v19
	s_waitcnt lgkmcnt(0)
	s_barrier
	s_and_saveexec_b64 s[16:17], vcc
	s_cbranch_execz .LBB0_9
; %bb.8:
	v_sub_f32_e32 v11, v3, v11
	v_sub_f32_e32 v12, v4, v12
	;; [unrolled: 1-line block ×8, first 2 shown]
	v_fma_f32 v22, v4, 2.0, -v12
	v_fma_f32 v24, v3, 2.0, -v11
	v_add_f32_e32 v11, v8, v11
	v_sub_f32_e32 v12, v7, v12
	v_fma_f32 v5, v5, 2.0, -v15
	v_fma_f32 v6, v6, 2.0, -v16
	;; [unrolled: 1-line block ×3, first 2 shown]
	v_sub_f32_e32 v16, v9, v16
	v_add_f32_e32 v15, v10, v15
	v_fma_f32 v3, v8, 2.0, -v11
	v_fma_f32 v7, v7, 2.0, -v12
	;; [unrolled: 1-line block ×7, first 2 shown]
	v_mov_b32_e32 v2, v3
	v_mov_b32_e32 v1, v7
	v_fmac_f32_e32 v2, 0xbf3504f3, v8
	v_fmac_f32_e32 v1, 0xbf3504f3, v4
	;; [unrolled: 1-line block ×4, first 2 shown]
	v_sub_f32_e32 v9, v14, v22
	v_sub_f32_e32 v10, v23, v5
	;; [unrolled: 1-line block ×4, first 2 shown]
	v_fma_f32 v4, v3, 2.0, -v2
	v_fma_f32 v3, v7, 2.0, -v1
	;; [unrolled: 1-line block ×6, first 2 shown]
	v_sub_f32_e32 v6, v7, v5
	v_sub_f32_e32 v5, v13, v8
	v_fma_f32 v8, v7, 2.0, -v6
	v_fma_f32 v7, v13, 2.0, -v5
	v_mul_u32_u24_e32 v13, 56, v19
	v_add3_u32 v13, v21, v13, v20
	ds_write2_b64 v13, v[7:8], v[3:4] offset1:1
	v_mov_b32_e32 v3, v12
	v_mov_b32_e32 v4, v11
	v_fmac_f32_e32 v3, 0x3f3504f3, v16
	v_fmac_f32_e32 v4, 0x3f3504f3, v15
	;; [unrolled: 1-line block ×3, first 2 shown]
	v_add_f32_e32 v10, v9, v10
	v_fmac_f32_e32 v4, 0x3f3504f3, v16
	v_fma_f32 v7, v12, 2.0, -v3
	v_fma_f32 v12, v9, 2.0, -v10
	v_sub_f32_e32 v9, v22, v24
	v_fma_f32 v8, v11, 2.0, -v4
	v_fma_f32 v11, v22, 2.0, -v9
	ds_write2_b64 v13, v[11:12], v[7:8] offset0:2 offset1:3
	ds_write2_b64 v13, v[5:6], v[1:2] offset0:4 offset1:5
	;; [unrolled: 1-line block ×3, first 2 shown]
.LBB0_9:
	s_or_b64 exec, exec, s[16:17]
	v_and_b32_e32 v13, 7, v19
	v_lshlrev_b32_e32 v9, 5, v13
	s_waitcnt lgkmcnt(0)
	s_barrier
	global_load_dwordx4 v[1:4], v9, s[14:15]
	global_load_dwordx4 v[5:8], v9, s[14:15] offset:16
	ds_read2_b64 v[9:12], v17 offset0:40 offset1:80
	s_mul_i32 s28, s28, s10
	s_mul_i32 s3, s9, s1
	s_mul_hi_u32 s10, s8, s1
	s_mul_i32 s11, s8, s1
	s_add_i32 s10, s10, s3
	s_mul_i32 s13, s13, s19
	s_add_u32 s3, s11, s28
	s_addc_u32 s11, s10, 0
	s_waitcnt vmcnt(1) lgkmcnt(0)
	v_mul_f32_e32 v14, v2, v10
	v_mul_f32_e32 v15, v2, v9
	;; [unrolled: 1-line block ×4, first 2 shown]
	v_fma_f32 v14, v1, v9, -v14
	v_fmac_f32_e32 v15, v1, v10
	v_fma_f32 v11, v3, v11, -v2
	v_fmac_f32_e32 v16, v3, v12
	ds_read2_b64 v[1:4], v17 offset0:120 offset1:160
	ds_read2_b32 v[9:10], v18 offset1:1
	s_waitcnt vmcnt(0) lgkmcnt(0)
	s_barrier
	v_mul_f32_e32 v12, v6, v2
	v_mul_f32_e32 v6, v6, v1
	v_mul_f32_e32 v21, v8, v4
	v_mul_f32_e32 v8, v8, v3
	v_fma_f32 v12, v5, v1, -v12
	v_fmac_f32_e32 v6, v5, v2
	v_fma_f32 v5, v7, v3, -v21
	v_fmac_f32_e32 v8, v7, v4
	v_add_f32_e32 v1, v11, v12
	v_sub_f32_e32 v2, v14, v11
	v_sub_f32_e32 v4, v5, v12
	v_add_f32_e32 v7, v14, v5
	v_add_f32_e32 v3, v14, v9
	v_sub_f32_e32 v21, v11, v14
	v_sub_f32_e32 v22, v12, v5
	v_add_f32_e32 v24, v2, v4
	v_fma_f32 v1, -0.5, v1, v9
	v_fma_f32 v9, -0.5, v7, v9
	v_sub_f32_e32 v4, v15, v16
	v_sub_f32_e32 v7, v8, v6
	v_add_f32_e32 v2, v16, v6
	v_add_f32_e32 v21, v21, v22
	;; [unrolled: 1-line block ×5, first 2 shown]
	v_fma_f32 v2, -0.5, v2, v10
	v_fmac_f32_e32 v10, -0.5, v4
	v_sub_f32_e32 v4, v16, v15
	v_sub_f32_e32 v7, v6, v8
	v_add_f32_e32 v25, v4, v7
	v_add_f32_e32 v4, v23, v16
	;; [unrolled: 1-line block ×3, first 2 shown]
	v_sub_f32_e32 v16, v16, v6
	v_sub_f32_e32 v14, v14, v5
	v_add_f32_e32 v3, v3, v11
	v_add_f32_e32 v6, v4, v8
	v_mov_b32_e32 v4, v2
	v_sub_f32_e32 v15, v15, v8
	v_sub_f32_e32 v11, v11, v12
	v_add_f32_e32 v7, v3, v12
	v_lshrrev_b32_e32 v12, 3, v19
	v_fmac_f32_e32 v2, 0x3f737871, v14
	v_mov_b32_e32 v8, v10
	v_fmac_f32_e32 v4, 0xbf737871, v14
	v_mov_b32_e32 v3, v1
	v_fmac_f32_e32 v10, 0xbf737871, v11
	v_fmac_f32_e32 v2, 0x3f167918, v11
	;; [unrolled: 1-line block ×4, first 2 shown]
	v_mul_u32_u24_e32 v11, 40, v12
	v_fmac_f32_e32 v1, 0xbf737871, v15
	v_add_f32_e32 v5, v7, v5
	v_mov_b32_e32 v7, v9
	v_fmac_f32_e32 v3, 0x3f737871, v15
	v_or_b32_e32 v11, v11, v13
	v_fmac_f32_e32 v9, 0x3f737871, v16
	v_fmac_f32_e32 v1, 0xbf167918, v16
	;; [unrolled: 1-line block ×4, first 2 shown]
	v_lshlrev_b32_e32 v11, 3, v11
	v_fmac_f32_e32 v9, 0xbf167918, v15
	v_fmac_f32_e32 v10, 0x3f167918, v14
	;; [unrolled: 1-line block ×8, first 2 shown]
	v_add3_u32 v11, 0, v11, v20
	v_fmac_f32_e32 v9, 0x3e9e377a, v21
	v_fmac_f32_e32 v10, 0x3e9e377a, v25
	;; [unrolled: 1-line block ×4, first 2 shown]
	ds_write2_b64 v11, v[5:6], v[3:4] offset1:8
	ds_write2_b64 v11, v[7:8], v[9:10] offset0:16 offset1:24
	ds_write_b64 v11, v[1:2] offset:256
	v_lshlrev_b32_e32 v1, 2, v19
	v_mov_b32_e32 v2, 0
	v_lshlrev_b64 v[3:4], 3, v[1:2]
	v_mov_b32_e32 v1, s15
	v_add_co_u32_e32 v11, vcc, s14, v3
	v_addc_co_u32_e32 v12, vcc, v1, v4, vcc
	s_waitcnt lgkmcnt(0)
	s_barrier
	global_load_dwordx4 v[3:6], v[11:12], off offset:256
	global_load_dwordx4 v[7:10], v[11:12], off offset:272
	ds_read2_b64 v[11:14], v17 offset0:40 offset1:80
	s_mul_hi_u32 s14, s12, s19
	s_mul_i32 s12, s12, s19
	s_add_i32 s14, s14, s13
	s_add_u32 s10, s3, s12
	s_mov_b32 s3, 0x1999999a
	s_addc_u32 s11, s11, s14
	s_andn2_b64 vcc, exec, s[6:7]
	s_waitcnt vmcnt(1) lgkmcnt(0)
	v_mul_f32_e32 v1, v4, v12
	v_mul_f32_e32 v15, v4, v11
	;; [unrolled: 1-line block ×4, first 2 shown]
	v_fma_f32 v1, v3, v11, -v1
	v_fmac_f32_e32 v15, v3, v12
	v_fma_f32 v13, v5, v13, -v4
	v_fmac_f32_e32 v16, v5, v14
	ds_read2_b64 v[3:6], v17 offset0:120 offset1:160
	ds_read2_b32 v[11:12], v18 offset1:1
	s_waitcnt vmcnt(0) lgkmcnt(0)
	s_barrier
	v_mul_f32_e32 v14, v8, v4
	v_mul_f32_e32 v18, v8, v3
	;; [unrolled: 1-line block ×4, first 2 shown]
	v_fma_f32 v10, v7, v3, -v14
	v_fma_f32 v8, v9, v5, -v8
	v_fmac_f32_e32 v18, v7, v4
	v_fmac_f32_e32 v19, v9, v6
	v_add_f32_e32 v4, v1, v11
	v_add_f32_e32 v3, v13, v10
	v_sub_f32_e32 v5, v1, v13
	v_sub_f32_e32 v6, v8, v10
	v_add_f32_e32 v7, v1, v8
	v_sub_f32_e32 v9, v13, v1
	v_sub_f32_e32 v21, v10, v8
	v_add_f32_e32 v22, v12, v15
	v_add_f32_e32 v23, v5, v6
	v_fma_f32 v3, -0.5, v3, v11
	v_fma_f32 v11, -0.5, v7, v11
	v_add_f32_e32 v5, v16, v18
	v_add_f32_e32 v6, v4, v13
	v_sub_f32_e32 v20, v16, v18
	v_add_f32_e32 v21, v9, v21
	v_add_f32_e32 v7, v22, v16
	v_fma_f32 v4, -0.5, v5, v12
	v_add_f32_e32 v5, v6, v10
	v_mov_b32_e32 v9, v11
	v_sub_f32_e32 v14, v15, v19
	v_add_f32_e32 v6, v7, v18
	v_add_f32_e32 v5, v5, v8
	v_mov_b32_e32 v7, v3
	v_fmac_f32_e32 v11, 0x3f737871, v20
	v_fmac_f32_e32 v9, 0xbf737871, v20
	v_sub_f32_e32 v1, v1, v8
	v_mov_b32_e32 v8, v4
	v_fmac_f32_e32 v3, 0xbf737871, v14
	v_fmac_f32_e32 v7, 0x3f737871, v14
	;; [unrolled: 1-line block ×5, first 2 shown]
	v_sub_f32_e32 v13, v13, v10
	v_sub_f32_e32 v10, v15, v16
	;; [unrolled: 1-line block ×3, first 2 shown]
	v_fmac_f32_e32 v4, 0x3f737871, v1
	v_fmac_f32_e32 v8, 0xbf167918, v13
	v_add_f32_e32 v10, v10, v14
	v_fmac_f32_e32 v4, 0x3f167918, v13
	v_fmac_f32_e32 v8, 0x3e9e377a, v10
	;; [unrolled: 1-line block ×3, first 2 shown]
	v_add_f32_e32 v10, v15, v19
	v_fmac_f32_e32 v12, -0.5, v10
	v_mov_b32_e32 v10, v12
	v_fmac_f32_e32 v7, 0x3f167918, v20
	v_fmac_f32_e32 v10, 0x3f737871, v13
	v_sub_f32_e32 v14, v16, v15
	v_sub_f32_e32 v15, v18, v19
	v_fmac_f32_e32 v12, 0xbf737871, v13
	v_add_f32_e32 v6, v6, v19
	v_fmac_f32_e32 v3, 0xbf167918, v20
	v_fmac_f32_e32 v7, 0x3e9e377a, v23
	;; [unrolled: 1-line block ×3, first 2 shown]
	v_add_f32_e32 v14, v14, v15
	v_fmac_f32_e32 v12, 0x3f167918, v1
	v_fmac_f32_e32 v3, 0x3e9e377a, v23
	;; [unrolled: 1-line block ×6, first 2 shown]
	ds_write2_b64 v17, v[5:6], v[7:8] offset1:40
	ds_write2_b64 v17, v[9:10], v[11:12] offset0:80 offset1:120
	ds_write_b64 v17, v[3:4] offset:1280
	v_mul_hi_u32 v7, v0, s3
	s_waitcnt lgkmcnt(0)
	s_barrier
	v_mul_u32_u24_e32 v1, 10, v7
	v_sub_u32_e32 v8, v0, v1
	s_cbranch_vccnz .LBB0_13
; %bb.10:
	v_mad_u64_u32 v[3:4], s[6:7], s8, v8, 0
	v_mul_lo_u32 v1, v7, s2
	v_lshlrev_b32_e32 v6, 3, v7
	v_mad_u64_u32 v[4:5], s[6:7], s9, v8, v[4:5]
	s_lshl_b64 s[6:7], s[10:11], 3
	v_mul_i32_i24_e32 v5, 0x648, v8
	s_add_u32 s3, s4, s6
	v_lshlrev_b64 v[3:4], 3, v[3:4]
	v_add3_u32 v5, 0, v5, v6
	s_addc_u32 s6, s5, s7
	ds_read2_b64 v[10:13], v5 offset1:40
	v_mov_b32_e32 v9, s6
	v_add_co_u32_e32 v6, vcc, s3, v3
	v_addc_co_u32_e32 v9, vcc, v9, v4, vcc
	v_lshlrev_b64 v[3:4], 3, v[1:2]
	s_mul_i32 s3, s2, 40
	v_add_co_u32_e32 v3, vcc, v6, v3
	v_addc_co_u32_e32 v4, vcc, v9, v4, vcc
	v_add_u32_e32 v1, s3, v1
	s_waitcnt lgkmcnt(0)
	global_store_dwordx2 v[3:4], v[10:11], off
	v_lshlrev_b64 v[3:4], 3, v[1:2]
	v_add_u32_e32 v1, s3, v1
	v_add_co_u32_e32 v3, vcc, v6, v3
	v_addc_co_u32_e32 v4, vcc, v9, v4, vcc
	global_store_dwordx2 v[3:4], v[12:13], off
	ds_read2_b64 v[10:13], v5 offset0:80 offset1:120
	v_lshlrev_b64 v[3:4], 3, v[1:2]
	v_add_u32_e32 v1, s3, v1
	v_add_co_u32_e32 v3, vcc, v6, v3
	v_addc_co_u32_e32 v4, vcc, v9, v4, vcc
	s_waitcnt lgkmcnt(0)
	global_store_dwordx2 v[3:4], v[10:11], off
	v_lshlrev_b64 v[3:4], 3, v[1:2]
	v_add_u32_e32 v1, s3, v1
	v_add_co_u32_e32 v3, vcc, v6, v3
	v_addc_co_u32_e32 v4, vcc, v9, v4, vcc
	global_store_dwordx2 v[3:4], v[12:13], off
	ds_read_b64 v[3:4], v5 offset:1280
	v_lshlrev_b64 v[1:2], 3, v[1:2]
	s_mov_b64 s[12:13], 0
	v_add_co_u32_e32 v1, vcc, v6, v1
	v_addc_co_u32_e32 v2, vcc, v9, v2, vcc
	v_cmp_gt_u32_e32 vcc, 10, v0
	s_mov_b64 s[6:7], 0
	s_waitcnt lgkmcnt(0)
	global_store_dwordx2 v[1:2], v[3:4], off
                                        ; implicit-def: $vgpr2
                                        ; implicit-def: $vgpr3_vgpr4
	s_and_saveexec_b64 s[14:15], vcc
	s_cbranch_execz .LBB0_12
; %bb.11:
	v_or_b32_e32 v1, 0xc8, v7
	v_mul_lo_u32 v3, v1, s2
	v_mov_b32_e32 v4, 0
	ds_read_b64 v[1:2], v5 offset:1600
	s_mov_b64 s[6:7], exec
	v_lshlrev_b64 v[3:4], 3, v[3:4]
	v_add_co_u32_e32 v3, vcc, v6, v3
	v_addc_co_u32_e32 v4, vcc, v9, v4, vcc
	s_waitcnt lgkmcnt(0)
	global_store_dword v[3:4], v1, off
.LBB0_12:
	s_or_b64 exec, exec, s[14:15]
	s_and_b64 vcc, exec, s[12:13]
	s_cbranch_vccnz .LBB0_14
	s_branch .LBB0_19
.LBB0_13:
	s_mov_b64 s[6:7], 0
                                        ; implicit-def: $vgpr2
                                        ; implicit-def: $vgpr3_vgpr4
	s_cbranch_execz .LBB0_19
.LBB0_14:
	v_add_u32_e32 v1, s1, v8
	v_cmp_gt_u32_e32 vcc, s0, v1
                                        ; implicit-def: $vgpr2
                                        ; implicit-def: $vgpr3_vgpr4
	s_and_saveexec_b64 s[12:13], vcc
	s_cbranch_execz .LBB0_18
; %bb.15:
	v_mad_u64_u32 v[2:3], s[14:15], s8, v8, 0
	v_mul_lo_u32 v5, v7, s2
	s_movk_i32 s1, 0x648
	v_mov_b32_e32 v1, v3
	v_mad_u64_u32 v[3:4], s[8:9], s9, v8, v[1:2]
	s_lshl_b64 s[8:9], s[10:11], 3
	v_mad_i32_i24 v1, v8, s1, 0
	s_add_u32 s1, s4, s8
	v_lshlrev_b64 v[2:3], 3, v[2:3]
	v_lshl_add_u32 v4, v7, 3, v1
	s_addc_u32 s3, s5, s9
	v_mov_b32_e32 v6, 0
	ds_read2_b64 v[9:12], v4 offset1:40
	v_mov_b32_e32 v8, s3
	v_add_co_u32_e32 v7, vcc, s1, v2
	v_addc_co_u32_e32 v8, vcc, v8, v3, vcc
	v_lshlrev_b64 v[2:3], 3, v[5:6]
	s_mul_i32 s4, s2, 40
	v_add_co_u32_e32 v2, vcc, v7, v2
	v_addc_co_u32_e32 v3, vcc, v8, v3, vcc
	v_add_u32_e32 v5, s4, v5
	s_waitcnt lgkmcnt(0)
	global_store_dwordx2 v[2:3], v[9:10], off
	v_lshlrev_b64 v[2:3], 3, v[5:6]
	v_add_u32_e32 v5, s4, v5
	v_add_co_u32_e32 v2, vcc, v7, v2
	v_addc_co_u32_e32 v3, vcc, v8, v3, vcc
	global_store_dwordx2 v[2:3], v[11:12], off
	ds_read2_b64 v[9:12], v4 offset0:80 offset1:120
	v_lshlrev_b64 v[2:3], 3, v[5:6]
	v_add_u32_e32 v5, s4, v5
	v_add_co_u32_e32 v2, vcc, v7, v2
	v_addc_co_u32_e32 v3, vcc, v8, v3, vcc
	s_waitcnt lgkmcnt(0)
	global_store_dwordx2 v[2:3], v[9:10], off
	v_lshlrev_b64 v[2:3], 3, v[5:6]
	v_add_u32_e32 v5, s4, v5
	v_add_co_u32_e32 v2, vcc, v7, v2
	v_addc_co_u32_e32 v3, vcc, v8, v3, vcc
	global_store_dwordx2 v[2:3], v[11:12], off
	ds_read_b64 v[2:3], v4 offset:1280
	v_lshlrev_b64 v[9:10], 3, v[5:6]
	s_mul_hi_u32 s1, s0, 0xcccccccd
	s_lshr_b32 s1, s1, 3
	v_add_co_u32_e32 v9, vcc, v7, v9
	s_mul_i32 s1, s1, 10
	v_addc_co_u32_e32 v10, vcc, v8, v10, vcc
	s_sub_i32 s0, s0, s1
	v_cmp_gt_u32_e32 vcc, s0, v0
	s_mov_b64 s[2:3], s[6:7]
	s_waitcnt lgkmcnt(0)
	global_store_dwordx2 v[9:10], v[2:3], off
                                        ; implicit-def: $vgpr2
                                        ; implicit-def: $vgpr3_vgpr4
	s_and_saveexec_b64 s[0:1], vcc
	s_cbranch_execz .LBB0_17
; %bb.16:
	v_add_u32_e32 v5, s4, v5
	ds_read_b64 v[1:2], v1 offset:1600
	v_lshlrev_b64 v[3:4], 3, v[5:6]
	s_or_b64 s[2:3], s[6:7], exec
	v_add_co_u32_e32 v3, vcc, v7, v3
	v_addc_co_u32_e32 v4, vcc, v8, v4, vcc
	s_waitcnt lgkmcnt(0)
	global_store_dword v[3:4], v1, off
.LBB0_17:
	s_or_b64 exec, exec, s[0:1]
	s_andn2_b64 s[0:1], s[6:7], exec
	s_and_b64 s[2:3], s[2:3], exec
	s_or_b64 s[6:7], s[0:1], s[2:3]
.LBB0_18:
	s_or_b64 exec, exec, s[12:13]
.LBB0_19:
	s_and_saveexec_b64 s[0:1], s[6:7]
	s_cbranch_execnz .LBB0_21
; %bb.20:
	s_endpgm
.LBB0_21:
	global_store_dword v[3:4], v2, off offset:4
	s_endpgm
	.section	.rodata,"a",@progbits
	.p2align	6, 0x0
	.amdhsa_kernel fft_rtc_fwd_len200_factors_8_5_5_wgs_400_tpt_40_sp_op_CI_CI_sbrc_erc_z_xy_unaligned
		.amdhsa_group_segment_fixed_size 0
		.amdhsa_private_segment_fixed_size 0
		.amdhsa_kernarg_size 104
		.amdhsa_user_sgpr_count 6
		.amdhsa_user_sgpr_private_segment_buffer 1
		.amdhsa_user_sgpr_dispatch_ptr 0
		.amdhsa_user_sgpr_queue_ptr 0
		.amdhsa_user_sgpr_kernarg_segment_ptr 1
		.amdhsa_user_sgpr_dispatch_id 0
		.amdhsa_user_sgpr_flat_scratch_init 0
		.amdhsa_user_sgpr_private_segment_size 0
		.amdhsa_uses_dynamic_stack 0
		.amdhsa_system_sgpr_private_segment_wavefront_offset 0
		.amdhsa_system_sgpr_workgroup_id_x 1
		.amdhsa_system_sgpr_workgroup_id_y 0
		.amdhsa_system_sgpr_workgroup_id_z 0
		.amdhsa_system_sgpr_workgroup_info 0
		.amdhsa_system_vgpr_workitem_id 0
		.amdhsa_next_free_vgpr 26
		.amdhsa_next_free_sgpr 29
		.amdhsa_reserve_vcc 1
		.amdhsa_reserve_flat_scratch 0
		.amdhsa_float_round_mode_32 0
		.amdhsa_float_round_mode_16_64 0
		.amdhsa_float_denorm_mode_32 3
		.amdhsa_float_denorm_mode_16_64 3
		.amdhsa_dx10_clamp 1
		.amdhsa_ieee_mode 1
		.amdhsa_fp16_overflow 0
		.amdhsa_exception_fp_ieee_invalid_op 0
		.amdhsa_exception_fp_denorm_src 0
		.amdhsa_exception_fp_ieee_div_zero 0
		.amdhsa_exception_fp_ieee_overflow 0
		.amdhsa_exception_fp_ieee_underflow 0
		.amdhsa_exception_fp_ieee_inexact 0
		.amdhsa_exception_int_div_zero 0
	.end_amdhsa_kernel
	.text
.Lfunc_end0:
	.size	fft_rtc_fwd_len200_factors_8_5_5_wgs_400_tpt_40_sp_op_CI_CI_sbrc_erc_z_xy_unaligned, .Lfunc_end0-fft_rtc_fwd_len200_factors_8_5_5_wgs_400_tpt_40_sp_op_CI_CI_sbrc_erc_z_xy_unaligned
                                        ; -- End function
	.section	.AMDGPU.csdata,"",@progbits
; Kernel info:
; codeLenInByte = 3424
; NumSgprs: 33
; NumVgprs: 26
; ScratchSize: 0
; MemoryBound: 0
; FloatMode: 240
; IeeeMode: 1
; LDSByteSize: 0 bytes/workgroup (compile time only)
; SGPRBlocks: 4
; VGPRBlocks: 6
; NumSGPRsForWavesPerEU: 33
; NumVGPRsForWavesPerEU: 26
; Occupancy: 9
; WaveLimiterHint : 1
; COMPUTE_PGM_RSRC2:SCRATCH_EN: 0
; COMPUTE_PGM_RSRC2:USER_SGPR: 6
; COMPUTE_PGM_RSRC2:TRAP_HANDLER: 0
; COMPUTE_PGM_RSRC2:TGID_X_EN: 1
; COMPUTE_PGM_RSRC2:TGID_Y_EN: 0
; COMPUTE_PGM_RSRC2:TGID_Z_EN: 0
; COMPUTE_PGM_RSRC2:TIDIG_COMP_CNT: 0
	.type	__hip_cuid_509e42e61d3ce710,@object ; @__hip_cuid_509e42e61d3ce710
	.section	.bss,"aw",@nobits
	.globl	__hip_cuid_509e42e61d3ce710
__hip_cuid_509e42e61d3ce710:
	.byte	0                               ; 0x0
	.size	__hip_cuid_509e42e61d3ce710, 1

	.ident	"AMD clang version 19.0.0git (https://github.com/RadeonOpenCompute/llvm-project roc-6.4.0 25133 c7fe45cf4b819c5991fe208aaa96edf142730f1d)"
	.section	".note.GNU-stack","",@progbits
	.addrsig
	.addrsig_sym __hip_cuid_509e42e61d3ce710
	.amdgpu_metadata
---
amdhsa.kernels:
  - .args:
      - .actual_access:  read_only
        .address_space:  global
        .offset:         0
        .size:           8
        .value_kind:     global_buffer
      - .offset:         8
        .size:           8
        .value_kind:     by_value
      - .actual_access:  read_only
        .address_space:  global
        .offset:         16
        .size:           8
        .value_kind:     global_buffer
      - .actual_access:  read_only
        .address_space:  global
        .offset:         24
        .size:           8
        .value_kind:     global_buffer
      - .actual_access:  read_only
        .address_space:  global
        .offset:         32
        .size:           8
        .value_kind:     global_buffer
      - .offset:         40
        .size:           8
        .value_kind:     by_value
      - .actual_access:  read_only
        .address_space:  global
        .offset:         48
        .size:           8
        .value_kind:     global_buffer
      - .actual_access:  read_only
        .address_space:  global
        .offset:         56
        .size:           8
        .value_kind:     global_buffer
      - .offset:         64
        .size:           4
        .value_kind:     by_value
      - .actual_access:  read_only
        .address_space:  global
        .offset:         72
        .size:           8
        .value_kind:     global_buffer
      - .actual_access:  read_only
        .address_space:  global
        .offset:         80
        .size:           8
        .value_kind:     global_buffer
      - .actual_access:  read_only
        .address_space:  global
        .offset:         88
        .size:           8
        .value_kind:     global_buffer
      - .actual_access:  write_only
        .address_space:  global
        .offset:         96
        .size:           8
        .value_kind:     global_buffer
    .group_segment_fixed_size: 0
    .kernarg_segment_align: 8
    .kernarg_segment_size: 104
    .language:       OpenCL C
    .language_version:
      - 2
      - 0
    .max_flat_workgroup_size: 400
    .name:           fft_rtc_fwd_len200_factors_8_5_5_wgs_400_tpt_40_sp_op_CI_CI_sbrc_erc_z_xy_unaligned
    .private_segment_fixed_size: 0
    .sgpr_count:     33
    .sgpr_spill_count: 0
    .symbol:         fft_rtc_fwd_len200_factors_8_5_5_wgs_400_tpt_40_sp_op_CI_CI_sbrc_erc_z_xy_unaligned.kd
    .uniform_work_group_size: 1
    .uses_dynamic_stack: false
    .vgpr_count:     26
    .vgpr_spill_count: 0
    .wavefront_size: 64
amdhsa.target:   amdgcn-amd-amdhsa--gfx906
amdhsa.version:
  - 1
  - 2
...

	.end_amdgpu_metadata
